;; amdgpu-corpus repo=ROCm/rocFFT kind=compiled arch=gfx906 opt=O3
	.text
	.amdgcn_target "amdgcn-amd-amdhsa--gfx906"
	.amdhsa_code_object_version 6
	.protected	fft_rtc_back_len300_factors_10_10_3_wgs_60_tpt_30_halfLds_half_ip_CI_unitstride_sbrr_R2C_dirReg ; -- Begin function fft_rtc_back_len300_factors_10_10_3_wgs_60_tpt_30_halfLds_half_ip_CI_unitstride_sbrr_R2C_dirReg
	.globl	fft_rtc_back_len300_factors_10_10_3_wgs_60_tpt_30_halfLds_half_ip_CI_unitstride_sbrr_R2C_dirReg
	.p2align	8
	.type	fft_rtc_back_len300_factors_10_10_3_wgs_60_tpt_30_halfLds_half_ip_CI_unitstride_sbrr_R2C_dirReg,@function
fft_rtc_back_len300_factors_10_10_3_wgs_60_tpt_30_halfLds_half_ip_CI_unitstride_sbrr_R2C_dirReg: ; @fft_rtc_back_len300_factors_10_10_3_wgs_60_tpt_30_halfLds_half_ip_CI_unitstride_sbrr_R2C_dirReg
; %bb.0:
	s_load_dwordx2 s[12:13], s[4:5], 0x50
	s_load_dwordx4 s[8:11], s[4:5], 0x0
	s_load_dwordx2 s[2:3], s[4:5], 0x18
	v_mul_u32_u24_e32 v1, 0x889, v0
	v_lshrrev_b32_e32 v9, 16, v1
	v_mov_b32_e32 v3, 0
	s_waitcnt lgkmcnt(0)
	v_cmp_lt_u64_e64 s[0:1], s[10:11], 2
	v_mov_b32_e32 v1, 0
	v_lshl_add_u32 v5, s6, 1, v9
	v_mov_b32_e32 v6, v3
	s_and_b64 vcc, exec, s[0:1]
	v_mov_b32_e32 v2, 0
	s_cbranch_vccnz .LBB0_8
; %bb.1:
	s_load_dwordx2 s[0:1], s[4:5], 0x10
	s_add_u32 s6, s2, 8
	s_addc_u32 s7, s3, 0
	v_mov_b32_e32 v1, 0
	v_mov_b32_e32 v2, 0
	s_waitcnt lgkmcnt(0)
	s_add_u32 s14, s0, 8
	s_addc_u32 s15, s1, 0
	s_mov_b64 s[16:17], 1
.LBB0_2:                                ; =>This Inner Loop Header: Depth=1
	s_load_dwordx2 s[18:19], s[14:15], 0x0
                                        ; implicit-def: $vgpr7_vgpr8
	s_waitcnt lgkmcnt(0)
	v_or_b32_e32 v4, s19, v6
	v_cmp_ne_u64_e32 vcc, 0, v[3:4]
	s_and_saveexec_b64 s[0:1], vcc
	s_xor_b64 s[20:21], exec, s[0:1]
	s_cbranch_execz .LBB0_4
; %bb.3:                                ;   in Loop: Header=BB0_2 Depth=1
	v_cvt_f32_u32_e32 v4, s18
	v_cvt_f32_u32_e32 v7, s19
	s_sub_u32 s0, 0, s18
	s_subb_u32 s1, 0, s19
	v_mac_f32_e32 v4, 0x4f800000, v7
	v_rcp_f32_e32 v4, v4
	v_mul_f32_e32 v4, 0x5f7ffffc, v4
	v_mul_f32_e32 v7, 0x2f800000, v4
	v_trunc_f32_e32 v7, v7
	v_mac_f32_e32 v4, 0xcf800000, v7
	v_cvt_u32_f32_e32 v7, v7
	v_cvt_u32_f32_e32 v4, v4
	v_mul_lo_u32 v8, s0, v7
	v_mul_hi_u32 v10, s0, v4
	v_mul_lo_u32 v12, s1, v4
	v_mul_lo_u32 v11, s0, v4
	v_add_u32_e32 v8, v10, v8
	v_add_u32_e32 v8, v8, v12
	v_mul_hi_u32 v10, v4, v11
	v_mul_lo_u32 v12, v4, v8
	v_mul_hi_u32 v14, v4, v8
	v_mul_hi_u32 v13, v7, v11
	v_mul_lo_u32 v11, v7, v11
	v_mul_hi_u32 v15, v7, v8
	v_add_co_u32_e32 v10, vcc, v10, v12
	v_addc_co_u32_e32 v12, vcc, 0, v14, vcc
	v_mul_lo_u32 v8, v7, v8
	v_add_co_u32_e32 v10, vcc, v10, v11
	v_addc_co_u32_e32 v10, vcc, v12, v13, vcc
	v_addc_co_u32_e32 v11, vcc, 0, v15, vcc
	v_add_co_u32_e32 v8, vcc, v10, v8
	v_addc_co_u32_e32 v10, vcc, 0, v11, vcc
	v_add_co_u32_e32 v4, vcc, v4, v8
	v_addc_co_u32_e32 v7, vcc, v7, v10, vcc
	v_mul_lo_u32 v8, s0, v7
	v_mul_hi_u32 v10, s0, v4
	v_mul_lo_u32 v11, s1, v4
	v_mul_lo_u32 v12, s0, v4
	v_add_u32_e32 v8, v10, v8
	v_add_u32_e32 v8, v8, v11
	v_mul_lo_u32 v13, v4, v8
	v_mul_hi_u32 v14, v4, v12
	v_mul_hi_u32 v15, v4, v8
	;; [unrolled: 1-line block ×3, first 2 shown]
	v_mul_lo_u32 v12, v7, v12
	v_mul_hi_u32 v10, v7, v8
	v_add_co_u32_e32 v13, vcc, v14, v13
	v_addc_co_u32_e32 v14, vcc, 0, v15, vcc
	v_mul_lo_u32 v8, v7, v8
	v_add_co_u32_e32 v12, vcc, v13, v12
	v_addc_co_u32_e32 v11, vcc, v14, v11, vcc
	v_addc_co_u32_e32 v10, vcc, 0, v10, vcc
	v_add_co_u32_e32 v8, vcc, v11, v8
	v_addc_co_u32_e32 v10, vcc, 0, v10, vcc
	v_add_co_u32_e32 v4, vcc, v4, v8
	v_addc_co_u32_e32 v10, vcc, v7, v10, vcc
	v_mad_u64_u32 v[7:8], s[0:1], v5, v10, 0
	v_mul_hi_u32 v11, v5, v4
	v_add_co_u32_e32 v12, vcc, v11, v7
	v_addc_co_u32_e32 v13, vcc, 0, v8, vcc
	v_mad_u64_u32 v[7:8], s[0:1], v6, v4, 0
	v_mad_u64_u32 v[10:11], s[0:1], v6, v10, 0
	v_add_co_u32_e32 v4, vcc, v12, v7
	v_addc_co_u32_e32 v4, vcc, v13, v8, vcc
	v_addc_co_u32_e32 v7, vcc, 0, v11, vcc
	v_add_co_u32_e32 v4, vcc, v4, v10
	v_addc_co_u32_e32 v10, vcc, 0, v7, vcc
	v_mul_lo_u32 v11, s19, v4
	v_mul_lo_u32 v12, s18, v10
	v_mad_u64_u32 v[7:8], s[0:1], s18, v4, 0
	v_add3_u32 v8, v8, v12, v11
	v_sub_u32_e32 v11, v6, v8
	v_mov_b32_e32 v12, s19
	v_sub_co_u32_e32 v7, vcc, v5, v7
	v_subb_co_u32_e64 v11, s[0:1], v11, v12, vcc
	v_subrev_co_u32_e64 v12, s[0:1], s18, v7
	v_subbrev_co_u32_e64 v11, s[0:1], 0, v11, s[0:1]
	v_cmp_le_u32_e64 s[0:1], s19, v11
	v_cndmask_b32_e64 v13, 0, -1, s[0:1]
	v_cmp_le_u32_e64 s[0:1], s18, v12
	v_cndmask_b32_e64 v12, 0, -1, s[0:1]
	v_cmp_eq_u32_e64 s[0:1], s19, v11
	v_cndmask_b32_e64 v11, v13, v12, s[0:1]
	v_add_co_u32_e64 v12, s[0:1], 2, v4
	v_addc_co_u32_e64 v13, s[0:1], 0, v10, s[0:1]
	v_add_co_u32_e64 v14, s[0:1], 1, v4
	v_addc_co_u32_e64 v15, s[0:1], 0, v10, s[0:1]
	v_subb_co_u32_e32 v8, vcc, v6, v8, vcc
	v_cmp_ne_u32_e64 s[0:1], 0, v11
	v_cmp_le_u32_e32 vcc, s19, v8
	v_cndmask_b32_e64 v11, v15, v13, s[0:1]
	v_cndmask_b32_e64 v13, 0, -1, vcc
	v_cmp_le_u32_e32 vcc, s18, v7
	v_cndmask_b32_e64 v7, 0, -1, vcc
	v_cmp_eq_u32_e32 vcc, s19, v8
	v_cndmask_b32_e32 v7, v13, v7, vcc
	v_cmp_ne_u32_e32 vcc, 0, v7
	v_cndmask_b32_e64 v7, v14, v12, s[0:1]
	v_cndmask_b32_e32 v8, v10, v11, vcc
	v_cndmask_b32_e32 v7, v4, v7, vcc
.LBB0_4:                                ;   in Loop: Header=BB0_2 Depth=1
	s_andn2_saveexec_b64 s[0:1], s[20:21]
	s_cbranch_execz .LBB0_6
; %bb.5:                                ;   in Loop: Header=BB0_2 Depth=1
	v_cvt_f32_u32_e32 v4, s18
	s_sub_i32 s20, 0, s18
	v_rcp_iflag_f32_e32 v4, v4
	v_mul_f32_e32 v4, 0x4f7ffffe, v4
	v_cvt_u32_f32_e32 v4, v4
	v_mul_lo_u32 v7, s20, v4
	v_mul_hi_u32 v7, v4, v7
	v_add_u32_e32 v4, v4, v7
	v_mul_hi_u32 v4, v5, v4
	v_mul_lo_u32 v7, v4, s18
	v_add_u32_e32 v8, 1, v4
	v_sub_u32_e32 v7, v5, v7
	v_subrev_u32_e32 v10, s18, v7
	v_cmp_le_u32_e32 vcc, s18, v7
	v_cndmask_b32_e32 v7, v7, v10, vcc
	v_cndmask_b32_e32 v4, v4, v8, vcc
	v_add_u32_e32 v8, 1, v4
	v_cmp_le_u32_e32 vcc, s18, v7
	v_cndmask_b32_e32 v7, v4, v8, vcc
	v_mov_b32_e32 v8, v3
.LBB0_6:                                ;   in Loop: Header=BB0_2 Depth=1
	s_or_b64 exec, exec, s[0:1]
	v_mul_lo_u32 v4, v8, s18
	v_mul_lo_u32 v12, v7, s19
	v_mad_u64_u32 v[10:11], s[0:1], v7, s18, 0
	s_load_dwordx2 s[0:1], s[6:7], 0x0
	s_add_u32 s16, s16, 1
	v_add3_u32 v4, v11, v12, v4
	v_sub_co_u32_e32 v5, vcc, v5, v10
	v_subb_co_u32_e32 v4, vcc, v6, v4, vcc
	s_waitcnt lgkmcnt(0)
	v_mul_lo_u32 v4, s0, v4
	v_mul_lo_u32 v6, s1, v5
	v_mad_u64_u32 v[1:2], s[0:1], s0, v5, v[1:2]
	s_addc_u32 s17, s17, 0
	s_add_u32 s6, s6, 8
	v_add3_u32 v2, v6, v2, v4
	v_mov_b32_e32 v4, s10
	v_mov_b32_e32 v5, s11
	s_addc_u32 s7, s7, 0
	v_cmp_ge_u64_e32 vcc, s[16:17], v[4:5]
	s_add_u32 s14, s14, 8
	s_addc_u32 s15, s15, 0
	s_cbranch_vccnz .LBB0_9
; %bb.7:                                ;   in Loop: Header=BB0_2 Depth=1
	v_mov_b32_e32 v5, v7
	v_mov_b32_e32 v6, v8
	s_branch .LBB0_2
.LBB0_8:
	v_mov_b32_e32 v8, v6
	v_mov_b32_e32 v7, v5
.LBB0_9:
	s_lshl_b64 s[0:1], s[10:11], 3
	s_add_u32 s0, s2, s0
	s_addc_u32 s1, s3, s1
	s_load_dwordx2 s[2:3], s[0:1], 0x0
	s_load_dwordx2 s[6:7], s[4:5], 0x20
	v_and_b32_e32 v5, 1, v9
	s_waitcnt lgkmcnt(0)
	v_mul_lo_u32 v3, s2, v8
	v_mul_lo_u32 v4, s3, v7
	v_mad_u64_u32 v[1:2], s[0:1], s2, v7, v[1:2]
	s_mov_b32 s2, 0x8888889
	v_cmp_gt_u64_e32 vcc, s[6:7], v[7:8]
	v_add3_u32 v2, v4, v2, v3
	v_mul_hi_u32 v4, v0, s2
	v_cmp_le_u64_e64 s[2:3], s[6:7], v[7:8]
	v_cmp_eq_u32_e64 s[0:1], 1, v5
	v_mov_b32_e32 v3, 0x12d
	v_mul_u32_u24_e32 v4, 30, v4
	v_sub_u32_e32 v0, v0, v4
	v_add_u32_e32 v4, 30, v0
	v_add_u32_e32 v6, 60, v0
                                        ; implicit-def: $vgpr8
	s_and_saveexec_b64 s[4:5], s[2:3]
	s_xor_b64 s[2:3], exec, s[4:5]
; %bb.10:
	v_add_u32_e32 v4, 30, v0
	v_add_u32_e32 v6, 60, v0
	;; [unrolled: 1-line block ×3, first 2 shown]
; %bb.11:
	s_or_saveexec_b64 s[2:3], s[2:3]
	v_cndmask_b32_e64 v5, 0, v3, s[0:1]
	v_lshlrev_b64 v[2:3], 2, v[1:2]
	v_lshlrev_b32_e32 v9, 2, v5
	v_lshlrev_b32_e32 v5, 2, v0
	s_xor_b64 exec, exec, s[2:3]
	s_cbranch_execz .LBB0_13
; %bb.12:
	v_mov_b32_e32 v1, 0
	v_mov_b32_e32 v7, s13
	v_add_co_u32_e64 v10, s[0:1], s12, v2
	v_addc_co_u32_e64 v11, s[0:1], v7, v3, s[0:1]
	v_lshlrev_b64 v[7:8], 2, v[0:1]
	v_add_co_u32_e64 v7, s[0:1], v10, v7
	v_addc_co_u32_e64 v8, s[0:1], v11, v8, s[0:1]
	global_load_dword v1, v[7:8], off
	global_load_dword v10, v[7:8], off offset:120
	global_load_dword v11, v[7:8], off offset:240
	;; [unrolled: 1-line block ×9, first 2 shown]
	v_add3_u32 v7, 0, v9, v5
	v_add_u32_e32 v8, 0x5a, v0
	v_add_u32_e32 v19, 0x200, v7
	s_waitcnt vmcnt(8)
	ds_write2_b32 v7, v1, v10 offset1:30
	s_waitcnt vmcnt(6)
	ds_write2_b32 v7, v11, v12 offset0:60 offset1:90
	s_waitcnt vmcnt(4)
	ds_write2_b32 v7, v13, v14 offset0:120 offset1:150
	;; [unrolled: 2-line block ×4, first 2 shown]
.LBB0_13:
	s_or_b64 exec, exec, s[2:3]
	v_add3_u32 v1, 0, v5, v9
	s_waitcnt lgkmcnt(0)
	; wave barrier
	s_waitcnt lgkmcnt(0)
	ds_read2_b32 v[10:11], v1 offset0:30 offset1:60
	ds_read2_b32 v[12:13], v1 offset0:150 offset1:180
	;; [unrolled: 1-line block ×4, first 2 shown]
	ds_read_b32 v22, v1 offset:1080
	s_mov_b32 s1, 0xbb9c
	s_movk_i32 s4, 0x3b9c
	s_waitcnt lgkmcnt(2)
	v_sub_f16_e32 v7, v15, v13
	s_waitcnt lgkmcnt(1)
	v_sub_f16_e32 v18, v11, v17
	v_add_f16_e32 v18, v18, v7
	v_add_u32_e32 v7, 0, v9
	v_add_u32_e32 v19, v7, v5
	ds_read_b32 v23, v19
	v_sub_f16_sdwa v20, v11, v17 dst_sel:DWORD dst_unused:UNUSED_PAD src0_sel:WORD_1 src1_sel:WORD_1
	v_sub_f16_sdwa v21, v15, v13 dst_sel:DWORD dst_unused:UNUSED_PAD src0_sel:WORD_1 src1_sel:WORD_1
	v_add_f16_e32 v20, v20, v21
	s_waitcnt lgkmcnt(1)
	v_sub_f16_e32 v21, v22, v14
	v_sub_f16_e32 v24, v16, v12
	v_add_f16_e32 v21, v24, v21
	s_waitcnt lgkmcnt(0)
	v_pk_add_f16 v24, v23, v11
	v_pk_add_f16 v25, v10, v16
	;; [unrolled: 1-line block ×5, first 2 shown]
	v_add_f16_e32 v31, v12, v14
	v_add_f16_e32 v39, v16, v22
	v_pk_add_f16 v25, v25, v14
	v_add_f16_e32 v26, v17, v13
	v_sub_f16_sdwa v27, v17, v13 dst_sel:DWORD dst_unused:UNUSED_PAD src0_sel:WORD_1 src1_sel:WORD_1
	v_sub_f16_e32 v28, v13, v15
	v_add_f16_sdwa v29, v17, v13 dst_sel:DWORD dst_unused:UNUSED_PAD src0_sel:WORD_1 src1_sel:WORD_1
	v_sub_f16_e32 v30, v17, v13
	v_sub_f16_sdwa v13, v13, v15 dst_sel:DWORD dst_unused:UNUSED_PAD src0_sel:WORD_1 src1_sel:WORD_1
	v_sub_f16_sdwa v32, v12, v14 dst_sel:DWORD dst_unused:UNUSED_PAD src0_sel:WORD_1 src1_sel:WORD_1
	v_sub_f16_e32 v33, v12, v16
	v_add_f16_sdwa v34, v12, v14 dst_sel:DWORD dst_unused:UNUSED_PAD src0_sel:WORD_1 src1_sel:WORD_1
	v_sub_f16_e32 v35, v12, v14
	v_sub_f16_sdwa v36, v16, v12 dst_sel:DWORD dst_unused:UNUSED_PAD src0_sel:WORD_1 src1_sel:WORD_1
	v_sub_f16_sdwa v12, v12, v16 dst_sel:DWORD dst_unused:UNUSED_PAD src0_sel:WORD_1 src1_sel:WORD_1
	v_sub_f16_e32 v37, v17, v11
	v_sub_f16_sdwa v17, v17, v11 dst_sel:DWORD dst_unused:UNUSED_PAD src0_sel:WORD_1 src1_sel:WORD_1
	v_sub_f16_sdwa v38, v16, v22 dst_sel:DWORD dst_unused:UNUSED_PAD src0_sel:WORD_1 src1_sel:WORD_1
	v_sub_f16_e32 v40, v16, v22
	v_add_f16_sdwa v16, v16, v22 dst_sel:DWORD dst_unused:UNUSED_PAD src0_sel:WORD_1 src1_sel:WORD_1
	v_pk_add_f16 v24, v24, v15
	v_sub_f16_sdwa v41, v11, v15 dst_sel:DWORD dst_unused:UNUSED_PAD src0_sel:WORD_1 src1_sel:WORD_1
	v_add_f16_e32 v42, v11, v15
	v_sub_f16_e32 v43, v11, v15
	v_add_f16_sdwa v11, v11, v15 dst_sel:DWORD dst_unused:UNUSED_PAD src0_sel:WORD_1 src1_sel:WORD_1
	v_sub_f16_e32 v15, v14, v22
	v_sub_f16_sdwa v44, v22, v14 dst_sel:DWORD dst_unused:UNUSED_PAD src0_sel:WORD_1 src1_sel:WORD_1
	v_sub_f16_sdwa v14, v14, v22 dst_sel:DWORD dst_unused:UNUSED_PAD src0_sel:WORD_1 src1_sel:WORD_1
	v_pk_add_f16 v22, v25, v22
	v_fma_f16 v25, v31, -0.5, v10
	v_fma_f16 v31, v39, -0.5, v10
	v_lshrrev_b32_e32 v10, 16, v10
	v_lshrrev_b32_e32 v46, 16, v23
	v_fma_f16 v34, v34, -0.5, v10
	v_fma_f16 v11, v11, -0.5, v46
	v_add_f16_e32 v36, v36, v44
	s_mov_b32 s2, 0xb8b4
	s_movk_i32 s0, 0x38b4
	v_fma_f16 v44, v40, s4, v34
	v_fma_f16 v26, v26, -0.5, v23
	v_fma_f16 v23, v42, -0.5, v23
	v_add_f16_e32 v13, v17, v13
	v_fma_f16 v17, v30, s1, v11
	v_fma_f16 v11, v30, s4, v11
	v_fma_f16 v10, v16, -0.5, v10
	s_movk_i32 s3, 0x34f2
	v_fma_f16 v39, v38, s1, v25
	v_fma_f16 v44, v35, s0, v44
	v_add_f16_e32 v28, v37, v28
	v_fma_f16 v37, v27, s4, v23
	v_fma_f16 v23, v27, s1, v23
	;; [unrolled: 1-line block ×4, first 2 shown]
	v_add_f16_e32 v12, v12, v14
	v_fma_f16 v14, v35, s1, v10
	v_fma_f16 v39, v32, s2, v39
	;; [unrolled: 1-line block ×7, first 2 shown]
	v_add_f16_e32 v13, v33, v15
	v_fma_f16 v15, v32, s4, v31
	v_fma_f16 v14, v40, s0, v14
	;; [unrolled: 1-line block ×4, first 2 shown]
	s_movk_i32 s7, 0x3a79
	v_mul_f16_e32 v45, 0xb8b4, v44
	v_fma_f16 v37, v28, s3, v37
	v_fma_f16 v23, v28, s3, v23
	;; [unrolled: 1-line block ×7, first 2 shown]
	v_mul_f16_e32 v39, 0x38b4, v39
	v_fma_f16 v29, v29, -0.5, v46
	v_fma_f16 v15, v13, s3, v15
	v_fma_f16 v28, v38, s0, v28
	v_fma_f16 v10, v12, s3, v10
	v_mul_f16_e32 v12, 0xbb9c, v14
	v_mul_f16_e32 v14, 0x34f2, v14
	v_fma_f16 v39, v44, s7, v39
	v_fma_f16 v44, v41, s1, v26
	;; [unrolled: 1-line block ×6, first 2 shown]
	s_mov_b32 s5, 0xb4f2
	v_mul_f16_e32 v15, 0xbb9c, v10
	v_mul_f16_e32 v10, 0xb4f2, v10
	v_fma_f16 v44, v27, s2, v44
	v_fma_f16 v47, v30, s0, v47
	;; [unrolled: 1-line block ×6, first 2 shown]
	v_add_f16_e32 v13, v23, v15
	v_add_f16_e32 v16, v11, v10
	;; [unrolled: 1-line block ×4, first 2 shown]
	v_pack_b32_f16 v13, v13, v16
	v_add_f16_e32 v16, v37, v12
	v_add_f16_e32 v28, v17, v14
	v_pack_b32_f16 v48, v48, v49
	v_mad_u32_u24 v49, v0, 36, v1
	v_pack_b32_f16 v16, v16, v28
	s_waitcnt lgkmcnt(0)
	; wave barrier
	ds_write2_b32 v49, v16, v13 offset0:2 offset1:3
	v_fma_f16 v16, v43, s1, v29
	v_fma_f16 v13, v41, s4, v26
	;; [unrolled: 1-line block ×12, first 2 shown]
	s_mov_b32 s6, 0xba79
	v_mul_f16_e32 v21, 0xb8b4, v20
	v_mul_f16_e32 v20, 0xba79, v20
	v_fma_f16 v21, v18, s6, v21
	v_fma_f16 v18, v18, s0, v20
	v_pk_add_f16 v50, v24, v22
	v_pk_add_f16 v20, v24, v22 neg_lo:[0,1] neg_hi:[0,1]
	v_add_f16_e32 v22, v13, v21
	v_sub_f16_e32 v15, v23, v15
	v_sub_f16_e32 v13, v13, v21
	;; [unrolled: 1-line block ×4, first 2 shown]
	v_pack_b32_f16 v11, v13, v11
	v_pack_b32_f16 v10, v15, v10
	s_movk_i32 s10, 0xcd
	ds_write2_b32 v49, v10, v11 offset0:8 offset1:9
	v_mul_lo_u16_sdwa v10, v0, s10 dst_sel:DWORD dst_unused:UNUSED_PAD src0_sel:BYTE_0 src1_sel:DWORD
	v_add_f16_e32 v24, v16, v18
	v_lshrrev_b16_e32 v18, 11, v10
	v_mul_lo_u16_e32 v10, 10, v18
	v_pack_b32_f16 v22, v22, v24
	v_sub_u16_e32 v23, v0, v10
	v_mov_b32_e32 v10, 9
	ds_write2_b32 v49, v22, v20 offset0:4 offset1:5
	v_sub_f16_e32 v20, v44, v45
	v_sub_f16_e32 v12, v37, v12
	;; [unrolled: 1-line block ×4, first 2 shown]
	v_mul_u32_u24_sdwa v10, v23, v10 dst_sel:DWORD dst_unused:UNUSED_PAD src0_sel:BYTE_0 src1_sel:DWORD
	v_pack_b32_f16 v12, v12, v14
	v_pack_b32_f16 v14, v20, v21
	v_lshlrev_b32_e32 v20, 2, v10
	ds_write2_b32 v49, v50, v48 offset1:1
	ds_write2_b32 v49, v14, v12 offset0:6 offset1:7
	s_waitcnt lgkmcnt(0)
	; wave barrier
	s_waitcnt lgkmcnt(0)
	global_load_dwordx4 v[10:13], v20, s[8:9]
	global_load_dwordx4 v[14:17], v20, s[8:9] offset:16
	global_load_dword v24, v20, s[8:9] offset:32
	v_lshl_add_u32 v22, v4, 2, v7
	ds_read_b32 v25, v22
	v_lshl_add_u32 v21, v6, 2, v7
	v_lshl_add_u32 v20, v8, 2, v7
	ds_read_b32 v26, v21
	ds_read_b32 v27, v20
	;; [unrolled: 1-line block ×3, first 2 shown]
	s_movk_i32 s10, 0x190
	s_waitcnt lgkmcnt(3)
	v_lshrrev_b32_e32 v29, 16, v25
	v_mad_u32_u24 v18, v18, s10, 0
	s_waitcnt lgkmcnt(1)
	v_lshrrev_b32_e32 v31, 16, v27
	s_waitcnt lgkmcnt(0)
	v_lshrrev_b32_e32 v47, 16, v28
	s_waitcnt vmcnt(2)
	v_mul_f16_sdwa v30, v10, v29 dst_sel:DWORD dst_unused:UNUSED_PAD src0_sel:WORD_1 src1_sel:DWORD
	v_fma_f16 v30, v10, v25, v30
	v_mul_f16_sdwa v25, v10, v25 dst_sel:DWORD dst_unused:UNUSED_PAD src0_sel:WORD_1 src1_sel:DWORD
	v_fma_f16 v25, v10, v29, -v25
	v_lshrrev_b32_e32 v10, 16, v26
	v_mul_f16_sdwa v29, v11, v10 dst_sel:DWORD dst_unused:UNUSED_PAD src0_sel:WORD_1 src1_sel:DWORD
	v_fma_f16 v29, v11, v26, v29
	v_mul_f16_sdwa v26, v11, v26 dst_sel:DWORD dst_unused:UNUSED_PAD src0_sel:WORD_1 src1_sel:DWORD
	v_fma_f16 v26, v11, v10, -v26
	ds_read2_b32 v[10:11], v1 offset0:120 offset1:150
	v_mul_f16_sdwa v32, v12, v31 dst_sel:DWORD dst_unused:UNUSED_PAD src0_sel:WORD_1 src1_sel:DWORD
	v_fma_f16 v32, v12, v27, v32
	v_mul_f16_sdwa v27, v12, v27 dst_sel:DWORD dst_unused:UNUSED_PAD src0_sel:WORD_1 src1_sel:DWORD
	v_fma_f16 v27, v12, v31, -v27
	s_waitcnt lgkmcnt(0)
	v_lshrrev_b32_e32 v12, 16, v10
	v_mul_f16_sdwa v31, v13, v10 dst_sel:DWORD dst_unused:UNUSED_PAD src0_sel:WORD_1 src1_sel:DWORD
	v_fma_f16 v31, v13, v12, -v31
	v_mul_f16_sdwa v12, v13, v12 dst_sel:DWORD dst_unused:UNUSED_PAD src0_sel:WORD_1 src1_sel:DWORD
	v_fma_f16 v10, v13, v10, v12
	ds_read2_b32 v[12:13], v1 offset0:180 offset1:210
	v_lshrrev_b32_e32 v33, 16, v11
	s_waitcnt vmcnt(1)
	v_mul_f16_sdwa v34, v14, v33 dst_sel:DWORD dst_unused:UNUSED_PAD src0_sel:WORD_1 src1_sel:DWORD
	v_fma_f16 v34, v14, v11, v34
	v_mul_f16_sdwa v11, v14, v11 dst_sel:DWORD dst_unused:UNUSED_PAD src0_sel:WORD_1 src1_sel:DWORD
	v_fma_f16 v33, v14, v33, -v11
	s_waitcnt lgkmcnt(0)
	v_lshrrev_b32_e32 v11, 16, v12
	v_mul_f16_sdwa v14, v12, v15 dst_sel:DWORD dst_unused:UNUSED_PAD src0_sel:DWORD src1_sel:WORD_1
	v_fma_f16 v35, v11, v15, -v14
	v_mul_f16_sdwa v11, v11, v15 dst_sel:DWORD dst_unused:UNUSED_PAD src0_sel:DWORD src1_sel:WORD_1
	v_fma_f16 v12, v12, v15, v11
	v_add_u32_e32 v11, 0x200, v1
	ds_read2_b32 v[14:15], v11 offset0:112 offset1:142
	v_lshrrev_b32_e32 v36, 16, v13
	v_mul_f16_sdwa v37, v36, v16 dst_sel:DWORD dst_unused:UNUSED_PAD src0_sel:DWORD src1_sel:WORD_1
	v_fma_f16 v37, v13, v16, v37
	v_mul_f16_sdwa v13, v13, v16 dst_sel:DWORD dst_unused:UNUSED_PAD src0_sel:DWORD src1_sel:WORD_1
	v_fma_f16 v13, v36, v16, -v13
	s_waitcnt lgkmcnt(0)
	v_lshrrev_b32_e32 v16, 16, v14
	v_mul_f16_sdwa v36, v14, v17 dst_sel:DWORD dst_unused:UNUSED_PAD src0_sel:DWORD src1_sel:WORD_1
	v_fma_f16 v36, v16, v17, -v36
	v_mul_f16_sdwa v16, v16, v17 dst_sel:DWORD dst_unused:UNUSED_PAD src0_sel:DWORD src1_sel:WORD_1
	v_fma_f16 v14, v14, v17, v16
	v_lshrrev_b32_e32 v16, 16, v15
	s_waitcnt vmcnt(0)
	v_mul_f16_sdwa v17, v16, v24 dst_sel:DWORD dst_unused:UNUSED_PAD src0_sel:DWORD src1_sel:WORD_1
	v_fma_f16 v17, v15, v24, v17
	v_mul_f16_sdwa v15, v15, v24 dst_sel:DWORD dst_unused:UNUSED_PAD src0_sel:DWORD src1_sel:WORD_1
	v_fma_f16 v15, v16, v24, -v15
	v_mov_b32_e32 v16, 2
	v_lshlrev_b32_sdwa v16, v16, v23 dst_sel:DWORD dst_unused:UNUSED_PAD src0_sel:DWORD src1_sel:BYTE_0
	v_add3_u32 v9, v18, v16, v9
	v_sub_f16_e32 v16, v29, v10
	v_sub_f16_e32 v18, v14, v12
	v_add_f16_e32 v16, v16, v18
	v_sub_f16_e32 v18, v26, v31
	v_sub_f16_e32 v23, v36, v35
	v_add_f16_e32 v18, v18, v23
	;; [unrolled: 3-line block ×4, first 2 shown]
	v_add_f16_e32 v24, v24, v38
	v_add_f16_e32 v38, v34, v37
	v_fma_f16 v42, v42, -0.5, v25
	v_sub_f16_e32 v43, v32, v17
	v_fma_f16 v38, v38, -0.5, v30
	v_sub_f16_e32 v39, v27, v15
	v_fma_f16 v44, v43, s4, v42
	v_sub_f16_e32 v45, v34, v37
	v_fma_f16 v40, v39, s1, v38
	;; [unrolled: 2-line block ×3, first 2 shown]
	v_fma_f16 v40, v41, s2, v40
	v_fma_f16 v44, v24, s3, v44
	;; [unrolled: 1-line block ×3, first 2 shown]
	v_mul_f16_e32 v46, 0xb8b4, v44
	v_mul_f16_e32 v44, 0x3a79, v44
	v_fma_f16 v46, v40, s7, v46
	v_fma_f16 v40, v40, s0, v44
	v_add_f16_e32 v44, v28, v29
	v_add_f16_e32 v48, v47, v26
	v_add_f16_e32 v49, v30, v32
	v_add_f16_e32 v50, v25, v27
	v_add_f16_e32 v44, v44, v10
	v_add_f16_e32 v48, v48, v31
	v_add_f16_e32 v49, v49, v34
	v_add_f16_e32 v50, v50, v33
	v_add_f16_e32 v44, v44, v12
	v_add_f16_e32 v48, v48, v35
	v_add_f16_e32 v49, v49, v37
	v_add_f16_e32 v50, v50, v13
	v_add_f16_e32 v44, v44, v14
	v_add_f16_e32 v48, v48, v36
	v_add_f16_e32 v49, v49, v17
	v_add_f16_e32 v50, v50, v15
	v_add_f16_e32 v51, v44, v49
	v_add_f16_e32 v52, v48, v50
	v_pack_b32_f16 v51, v51, v52
	v_add_f16_e32 v52, v10, v12
	v_add_f16_e32 v56, v31, v35
	v_fma_f16 v52, v52, -0.5, v28
	v_sub_f16_e32 v53, v26, v36
	v_fma_f16 v56, v56, -0.5, v47
	v_sub_f16_e32 v57, v29, v14
	v_fma_f16 v54, v53, s1, v52
	v_sub_f16_e32 v55, v31, v35
	v_fma_f16 v58, v57, s4, v56
	;; [unrolled: 2-line block ×3, first 2 shown]
	v_fma_f16 v58, v59, s0, v58
	v_fma_f16 v54, v16, s3, v54
	;; [unrolled: 1-line block ×3, first 2 shown]
	v_add_f16_e32 v60, v54, v46
	v_add_f16_e32 v61, v58, v40
	v_pack_b32_f16 v60, v60, v61
	s_waitcnt lgkmcnt(0)
	; wave barrier
	ds_write2_b32 v9, v51, v60 offset1:10
	v_add_f16_e32 v51, v29, v14
	v_fma_f16 v28, v51, -0.5, v28
	v_sub_f16_e32 v10, v10, v29
	v_sub_f16_e32 v12, v12, v14
	v_add_f16_e32 v10, v10, v12
	v_fma_f16 v12, v55, s4, v28
	v_fma_f16 v14, v55, s1, v28
	v_fma_f16 v12, v53, s2, v12
	v_fma_f16 v14, v53, s0, v14
	v_fma_f16 v12, v10, s3, v12
	v_fma_f16 v10, v10, s3, v14
	v_add_f16_e32 v14, v26, v36
	v_fma_f16 v14, v14, -0.5, v47
	v_sub_f16_e32 v26, v31, v26
	v_sub_f16_e32 v28, v35, v36
	v_add_f16_e32 v26, v26, v28
	v_fma_f16 v28, v59, s1, v14
	v_fma_f16 v14, v59, s4, v14
	v_fma_f16 v28, v57, s0, v28
	v_fma_f16 v14, v57, s2, v14
	v_fma_f16 v28, v26, s3, v28
	v_fma_f16 v14, v26, s3, v14
	;; [unrolled: 11-line block ×3, first 2 shown]
	v_add_f16_e32 v26, v27, v15
	v_fma_f16 v25, v26, -0.5, v25
	v_sub_f16_e32 v26, v33, v27
	v_sub_f16_e32 v13, v13, v15
	v_fma_f16 v15, v45, s1, v25
	v_add_f16_e32 v13, v26, v13
	v_fma_f16 v15, v43, s0, v15
	v_fma_f16 v25, v45, s4, v25
	;; [unrolled: 1-line block ×5, first 2 shown]
	v_mul_f16_e32 v25, 0xbb9c, v15
	v_mul_f16_e32 v15, 0x34f2, v15
	v_fma_f16 v25, v29, s3, v25
	v_fma_f16 v15, v29, s4, v15
	v_mul_f16_e32 v26, 0xbb9c, v13
	v_mul_f16_e32 v13, 0xb4f2, v13
	v_fma_f16 v26, v17, s5, v26
	v_fma_f16 v13, v17, s4, v13
	v_add_f16_e32 v17, v12, v25
	v_add_f16_e32 v27, v28, v15
	v_pack_b32_f16 v17, v17, v27
	v_add_f16_e32 v27, v10, v26
	v_add_f16_e32 v29, v14, v13
	v_pack_b32_f16 v27, v27, v29
	ds_write2_b32 v9, v17, v27 offset0:20 offset1:30
	v_fma_f16 v17, v53, s4, v52
	v_fma_f16 v17, v55, s0, v17
	;; [unrolled: 1-line block ×12, first 2 shown]
	v_mul_f16_e32 v24, 0xb8b4, v23
	v_mul_f16_e32 v23, 0xba79, v23
	v_fma_f16 v24, v18, s6, v24
	v_fma_f16 v18, v18, s0, v23
	v_sub_f16_e32 v23, v44, v49
	v_sub_f16_e32 v27, v48, v50
	v_add_f16_e32 v29, v16, v24
	v_add_f16_e32 v30, v17, v18
	v_pack_b32_f16 v29, v29, v30
	v_pack_b32_f16 v23, v23, v27
	ds_write2_b32 v9, v29, v23 offset0:40 offset1:50
	v_sub_f16_e32 v23, v54, v46
	v_sub_f16_e32 v12, v12, v25
	;; [unrolled: 1-line block ×4, first 2 shown]
	v_pack_b32_f16 v23, v23, v25
	v_pack_b32_f16 v12, v12, v15
	ds_write2_b32 v9, v23, v12 offset0:60 offset1:70
	v_sub_f16_e32 v10, v10, v26
	v_sub_f16_e32 v23, v16, v24
	;; [unrolled: 1-line block ×4, first 2 shown]
	v_pack_b32_f16 v10, v10, v12
	v_pack_b32_f16 v12, v23, v24
	ds_write2_b32 v9, v10, v12 offset0:80 offset1:90
	s_waitcnt lgkmcnt(0)
	; wave barrier
	s_waitcnt lgkmcnt(0)
	ds_read_b32 v29, v19
	ds_read_b32 v28, v22
	;; [unrolled: 1-line block ×3, first 2 shown]
	ds_read2_b32 v[17:18], v1 offset0:100 offset1:130
	ds_read2_b32 v[15:16], v1 offset0:160 offset1:200
	ds_read2_b32 v[13:14], v11 offset0:102 offset1:132
	v_cmp_gt_u32_e64 s[0:1], 10, v0
                                        ; implicit-def: $vgpr25
                                        ; implicit-def: $vgpr26
                                        ; implicit-def: $vgpr10
	s_and_saveexec_b64 s[2:3], s[0:1]
	s_cbranch_execz .LBB0_15
; %bb.14:
	ds_read_b32 v23, v20
	ds_read2_b32 v[9:10], v11 offset0:62 offset1:162
	s_waitcnt lgkmcnt(1)
	v_lshrrev_b32_e32 v24, 16, v23
	s_waitcnt lgkmcnt(0)
	v_lshrrev_b32_e32 v25, 16, v10
	v_lshrrev_b32_e32 v26, 16, v9
.LBB0_15:
	s_or_b64 exec, exec, s[2:3]
	v_lshlrev_b32_e32 v11, 1, v0
	v_mov_b32_e32 v12, 0
	v_lshlrev_b64 v[30:31], 2, v[11:12]
	v_lshlrev_b32_e32 v11, 1, v4
	v_mov_b32_e32 v36, s9
	v_add_co_u32_e64 v30, s[2:3], s8, v30
	v_lshlrev_b64 v[32:33], 2, v[11:12]
	v_addc_co_u32_e64 v31, s[2:3], v36, v31, s[2:3]
	v_lshlrev_b32_e32 v11, 1, v6
	v_add_co_u32_e64 v32, s[2:3], s8, v32
	v_lshlrev_b64 v[34:35], 2, v[11:12]
	v_addc_co_u32_e64 v33, s[2:3], v36, v33, s[2:3]
	global_load_dwordx2 v[30:31], v[30:31], off offset:360
	v_add_co_u32_e64 v34, s[2:3], s8, v34
	global_load_dwordx2 v[32:33], v[32:33], off offset:360
	v_addc_co_u32_e64 v35, s[2:3], v36, v35, s[2:3]
	global_load_dwordx2 v[34:35], v[34:35], off offset:360
	s_waitcnt lgkmcnt(1)
	v_lshrrev_b32_e32 v42, 16, v16
	v_lshrrev_b32_e32 v43, 16, v17
	s_waitcnt lgkmcnt(0)
	v_lshrrev_b32_e32 v40, 16, v13
	v_lshrrev_b32_e32 v41, 16, v18
	;; [unrolled: 1-line block ×6, first 2 shown]
	s_mov_b32 s4, 0xbaee
	s_movk_i32 s5, 0x3aee
	v_lshrrev_b32_e32 v37, 16, v27
	s_waitcnt lgkmcnt(0)
	; wave barrier
	s_waitcnt vmcnt(2)
	v_mul_f16_sdwa v44, v30, v43 dst_sel:DWORD dst_unused:UNUSED_PAD src0_sel:WORD_1 src1_sel:DWORD
	v_mul_f16_sdwa v45, v30, v17 dst_sel:DWORD dst_unused:UNUSED_PAD src0_sel:WORD_1 src1_sel:DWORD
	;; [unrolled: 1-line block ×4, first 2 shown]
	v_fma_f16 v17, v30, v17, v44
	v_fma_f16 v30, v30, v43, -v45
	v_fma_f16 v16, v31, v16, v46
	v_fma_f16 v31, v31, v42, -v47
	s_waitcnt vmcnt(1)
	v_mul_f16_sdwa v42, v32, v41 dst_sel:DWORD dst_unused:UNUSED_PAD src0_sel:WORD_1 src1_sel:DWORD
	v_mul_f16_sdwa v43, v32, v18 dst_sel:DWORD dst_unused:UNUSED_PAD src0_sel:WORD_1 src1_sel:DWORD
	v_mul_f16_sdwa v44, v33, v40 dst_sel:DWORD dst_unused:UNUSED_PAD src0_sel:WORD_1 src1_sel:DWORD
	v_mul_f16_sdwa v45, v33, v13 dst_sel:DWORD dst_unused:UNUSED_PAD src0_sel:WORD_1 src1_sel:DWORD
	v_fma_f16 v18, v32, v18, v42
	v_fma_f16 v32, v32, v41, -v43
	v_fma_f16 v13, v33, v13, v44
	v_fma_f16 v33, v33, v40, -v45
	s_waitcnt vmcnt(0)
	v_mul_f16_sdwa v40, v34, v39 dst_sel:DWORD dst_unused:UNUSED_PAD src0_sel:WORD_1 src1_sel:DWORD
	v_mul_f16_sdwa v41, v34, v15 dst_sel:DWORD dst_unused:UNUSED_PAD src0_sel:WORD_1 src1_sel:DWORD
	;; [unrolled: 1-line block ×4, first 2 shown]
	v_sub_f16_e32 v46, v30, v31
	v_add_f16_e32 v47, v11, v30
	v_add_f16_e32 v30, v30, v31
	;; [unrolled: 1-line block ×4, first 2 shown]
	v_sub_f16_e32 v17, v17, v16
	v_fma_f16 v15, v34, v15, v40
	v_fma_f16 v34, v34, v39, -v41
	v_fma_f16 v14, v35, v14, v42
	v_fma_f16 v35, v35, v38, -v43
	v_fma_f16 v11, v30, -0.5, v11
	v_add_f16_e32 v30, v28, v18
	v_add_f16_e32 v38, v18, v13
	v_sub_f16_e32 v39, v32, v33
	v_add_f16_e32 v40, v36, v32
	v_add_f16_e32 v32, v32, v33
	v_fma_f16 v29, v45, -0.5, v29
	v_sub_f16_e32 v18, v18, v13
	v_fma_f16 v42, v17, s5, v11
	v_fma_f16 v11, v17, s4, v11
	v_add_f16_e32 v13, v30, v13
	v_fma_f16 v17, v38, -0.5, v28
	v_add_f16_e32 v28, v40, v33
	v_fma_f16 v30, v32, -0.5, v36
	v_add_f16_e32 v32, v27, v15
	v_add_f16_e32 v33, v15, v14
	v_fma_f16 v41, v46, s4, v29
	v_fma_f16 v29, v46, s5, v29
	;; [unrolled: 1-line block ×4, first 2 shown]
	v_add_f16_e32 v30, v32, v14
	v_fma_f16 v27, v33, -0.5, v27
	v_sub_f16_e32 v32, v34, v35
	v_add_f16_e32 v16, v44, v16
	v_add_f16_e32 v31, v47, v31
	v_fma_f16 v36, v39, s4, v17
	v_fma_f16 v33, v32, s4, v27
	;; [unrolled: 1-line block ×3, first 2 shown]
	v_add_f16_e32 v32, v37, v34
	v_add_f16_e32 v34, v34, v35
	v_pack_b32_f16 v11, v29, v11
	v_fma_f16 v17, v39, s5, v17
	v_fma_f16 v34, v34, -0.5, v37
	v_sub_f16_e32 v14, v15, v14
	v_pack_b32_f16 v16, v16, v31
	v_pack_b32_f16 v31, v41, v42
	ds_write_b32 v1, v11 offset:800
	v_pack_b32_f16 v11, v13, v28
	v_pack_b32_f16 v13, v36, v38
	v_add_f16_e32 v32, v32, v35
	v_fma_f16 v15, v14, s5, v34
	ds_write2_b32 v1, v16, v31 offset1:100
	ds_write2_b32 v22, v11, v13 offset1:100
	v_pack_b32_f16 v11, v17, v18
	v_fma_f16 v14, v14, s4, v34
	ds_write_b32 v22, v11 offset:800
	v_pack_b32_f16 v11, v30, v32
	v_pack_b32_f16 v13, v33, v15
	ds_write2_b32 v21, v11, v13 offset1:100
	v_pack_b32_f16 v11, v27, v14
	ds_write_b32 v21, v11 offset:800
	s_and_saveexec_b64 s[2:3], s[0:1]
	s_cbranch_execz .LBB0_17
; %bb.16:
	v_add_u32_e32 v11, -10, v0
	v_cndmask_b32_e64 v11, v11, v8, s[0:1]
	v_lshlrev_b32_e32 v11, 1, v11
	v_lshlrev_b64 v[11:12], 2, v[11:12]
	v_mov_b32_e32 v13, s9
	v_add_co_u32_e64 v11, s[0:1], s8, v11
	v_addc_co_u32_e64 v12, s[0:1], v13, v12, s[0:1]
	global_load_dwordx2 v[11:12], v[11:12], off offset:360
	s_waitcnt vmcnt(0)
	v_mul_f16_sdwa v13, v9, v11 dst_sel:DWORD dst_unused:UNUSED_PAD src0_sel:DWORD src1_sel:WORD_1
	v_mul_f16_sdwa v14, v10, v12 dst_sel:DWORD dst_unused:UNUSED_PAD src0_sel:DWORD src1_sel:WORD_1
	;; [unrolled: 1-line block ×4, first 2 shown]
	v_fma_f16 v13, v26, v11, -v13
	v_fma_f16 v14, v25, v12, -v14
	v_fma_f16 v9, v9, v11, v15
	v_fma_f16 v10, v10, v12, v16
	v_add_f16_e32 v11, v13, v14
	v_add_f16_e32 v15, v24, v13
	;; [unrolled: 1-line block ×3, first 2 shown]
	v_sub_f16_e32 v12, v9, v10
	v_sub_f16_e32 v13, v13, v14
	v_add_f16_e32 v9, v23, v9
	v_fma_f16 v11, v11, -0.5, v24
	v_add_f16_e32 v14, v15, v14
	v_fma_f16 v15, v16, -0.5, v23
	v_add_f16_e32 v9, v9, v10
	v_fma_f16 v10, v12, s4, v11
	v_fma_f16 v11, v12, s5, v11
	;; [unrolled: 1-line block ×4, first 2 shown]
	v_pack_b32_f16 v9, v9, v14
	v_pack_b32_f16 v11, v13, v11
	v_pack_b32_f16 v10, v12, v10
	ds_write2_b32 v1, v9, v11 offset0:90 offset1:190
	ds_write_b32 v1, v10 offset:1160
.LBB0_17:
	s_or_b64 exec, exec, s[2:3]
	s_waitcnt lgkmcnt(0)
	; wave barrier
	s_waitcnt lgkmcnt(0)
	ds_read_b32 v9, v19
	v_sub_u32_e32 v12, v7, v5
	v_cmp_ne_u32_e64 s[0:1], 0, v0
                                        ; implicit-def: $vgpr14
                                        ; implicit-def: $vgpr13
                                        ; implicit-def: $vgpr15
                                        ; implicit-def: $vgpr10_vgpr11
	s_and_saveexec_b64 s[2:3], s[0:1]
	s_xor_b64 s[2:3], exec, s[2:3]
	s_cbranch_execz .LBB0_19
; %bb.18:
	v_mov_b32_e32 v1, 0
	v_lshlrev_b64 v[10:11], 2, v[0:1]
	v_mov_b32_e32 v5, s9
	v_add_co_u32_e64 v10, s[0:1], s8, v10
	v_addc_co_u32_e64 v11, s[0:1], v5, v11, s[0:1]
	global_load_dword v5, v[10:11], off offset:1160
	ds_read_b32 v7, v12 offset:1200
	s_mov_b32 s0, 0xffff
	s_waitcnt lgkmcnt(0)
	v_pk_add_f16 v10, v9, v7 neg_lo:[0,1] neg_hi:[0,1]
	v_pk_add_f16 v7, v7, v9
	v_bfi_b32 v9, s0, v10, v7
	v_pk_mul_f16 v9, v9, 0.5 op_sel_hi:[1,0]
	v_bfi_b32 v7, s0, v7, v10
	v_pk_mul_f16 v10, v7, 0.5 op_sel_hi:[1,0]
	s_waitcnt vmcnt(0)
	v_pk_mul_f16 v11, v5, v9 op_sel:[1,0]
	v_pk_mul_f16 v5, v5, v9 op_sel_hi:[0,1]
	v_pk_fma_f16 v7, v7, 0.5, v11 op_sel_hi:[1,0,1]
	v_sub_f16_e32 v9, v10, v11
	v_sub_f16_sdwa v10, v11, v10 dst_sel:DWORD dst_unused:UNUSED_PAD src0_sel:WORD_1 src1_sel:WORD_1
	v_pk_add_f16 v11, v7, v5 op_sel:[0,1] op_sel_hi:[1,0]
	v_pk_add_f16 v7, v7, v5 op_sel:[0,1] op_sel_hi:[1,0] neg_lo:[0,1] neg_hi:[0,1]
	v_sub_f16_e32 v15, v10, v5
	v_bfi_b32 v14, s0, v11, v7
	v_mov_b32_e32 v11, v1
	v_sub_f16_sdwa v13, v9, v5 dst_sel:DWORD dst_unused:UNUSED_PAD src0_sel:DWORD src1_sel:WORD_1
	v_mov_b32_e32 v10, v0
                                        ; implicit-def: $vgpr9
                                        ; implicit-def: $vgpr7
.LBB0_19:
	s_andn2_saveexec_b64 s[0:1], s[2:3]
	s_cbranch_execz .LBB0_21
; %bb.20:
	ds_read_u16 v1, v7 offset:602
	s_waitcnt lgkmcnt(1)
	v_alignbit_b32 v5, s0, v9, 16
	v_pk_add_f16 v5, v5, v9
	v_mov_b32_e32 v10, 0
	v_sub_f16_sdwa v13, v9, v9 dst_sel:DWORD dst_unused:UNUSED_PAD src0_sel:DWORD src1_sel:WORD_1
	v_pack_b32_f16 v14, v5, 0
	s_waitcnt lgkmcnt(0)
	v_xor_b32_e32 v1, 0x8000, v1
	v_mov_b32_e32 v11, 0
	v_mov_b32_e32 v15, 0
	ds_write_b16 v7, v1 offset:602
.LBB0_21:
	s_or_b64 exec, exec, s[0:1]
	v_mov_b32_e32 v5, 0
	v_lshlrev_b64 v[16:17], 2, v[4:5]
	v_mov_b32_e32 v1, s9
	v_add_co_u32_e64 v16, s[0:1], s8, v16
	v_addc_co_u32_e64 v17, s[0:1], v1, v17, s[0:1]
	global_load_dword v1, v[16:17], off offset:1160
	v_mov_b32_e32 v7, v5
	v_lshlrev_b64 v[6:7], 2, v[6:7]
	v_mov_b32_e32 v4, s9
	v_add_co_u32_e64 v6, s[0:1], s8, v6
	v_addc_co_u32_e64 v7, s[0:1], v4, v7, s[0:1]
	global_load_dword v16, v[6:7], off offset:1160
	s_waitcnt lgkmcnt(0)
	v_mov_b32_e32 v9, v5
	v_lshlrev_b64 v[4:5], 2, v[8:9]
	v_mov_b32_e32 v6, s9
	v_add_co_u32_e64 v4, s[0:1], s8, v4
	v_addc_co_u32_e64 v5, s[0:1], v6, v5, s[0:1]
	global_load_dword v8, v[4:5], off offset:1160
	s_add_u32 s0, s8, 0x488
	v_lshlrev_b64 v[4:5], 2, v[10:11]
	s_addc_u32 s1, s9, 0
	v_mov_b32_e32 v7, s1
	v_add_co_u32_e64 v6, s[0:1], s0, v4
	ds_write_b16 v12, v15 offset:1202
	ds_write_b32 v19, v14
	ds_write_b16 v12, v13 offset:1200
	v_addc_co_u32_e64 v7, s[0:1], v7, v5, s[0:1]
	ds_read_b32 v9, v22
	ds_read_b32 v10, v12 offset:1080
	global_load_dword v6, v[6:7], off offset:480
	s_mov_b32 s0, 0xffff
	s_waitcnt lgkmcnt(0)
	v_pk_add_f16 v7, v9, v10 neg_lo:[0,1] neg_hi:[0,1]
	v_pk_add_f16 v9, v9, v10
	v_bfi_b32 v10, s0, v7, v9
	v_bfi_b32 v7, s0, v9, v7
	v_pk_mul_f16 v9, v10, 0.5 op_sel_hi:[1,0]
	v_pk_mul_f16 v7, v7, 0.5 op_sel_hi:[1,0]
	s_waitcnt vmcnt(3)
	v_pk_fma_f16 v10, v1, v9, v7 op_sel:[1,0,0]
	v_pk_mul_f16 v11, v1, v9 op_sel_hi:[0,1]
	v_pk_fma_f16 v13, v1, v9, v7 op_sel:[1,0,0] neg_lo:[1,0,0] neg_hi:[1,0,0]
	v_pk_fma_f16 v1, v1, v9, v7 op_sel:[1,0,0] neg_lo:[0,0,1] neg_hi:[0,0,1]
	v_pk_add_f16 v7, v10, v11 op_sel:[0,1] op_sel_hi:[1,0]
	v_pk_add_f16 v9, v10, v11 op_sel:[0,1] op_sel_hi:[1,0] neg_lo:[0,1] neg_hi:[0,1]
	v_pk_add_f16 v10, v13, v11 op_sel:[0,1] op_sel_hi:[1,0] neg_lo:[0,1] neg_hi:[0,1]
	;; [unrolled: 1-line block ×3, first 2 shown]
	v_bfi_b32 v7, s0, v7, v9
	v_bfi_b32 v1, s0, v10, v1
	ds_write_b32 v22, v7
	ds_write_b32 v12, v1 offset:1080
	ds_read_b32 v1, v21
	ds_read_b32 v7, v12 offset:960
	s_waitcnt lgkmcnt(0)
	v_pk_add_f16 v9, v1, v7 neg_lo:[0,1] neg_hi:[0,1]
	v_pk_add_f16 v1, v1, v7
	v_bfi_b32 v7, s0, v9, v1
	v_bfi_b32 v1, s0, v1, v9
	v_pk_mul_f16 v7, v7, 0.5 op_sel_hi:[1,0]
	v_pk_mul_f16 v1, v1, 0.5 op_sel_hi:[1,0]
	s_waitcnt vmcnt(2)
	v_pk_fma_f16 v9, v16, v7, v1 op_sel:[1,0,0]
	v_pk_mul_f16 v10, v16, v7 op_sel_hi:[0,1]
	v_pk_fma_f16 v11, v16, v7, v1 op_sel:[1,0,0] neg_lo:[1,0,0] neg_hi:[1,0,0]
	v_pk_fma_f16 v1, v16, v7, v1 op_sel:[1,0,0] neg_lo:[0,0,1] neg_hi:[0,0,1]
	v_pk_add_f16 v7, v9, v10 op_sel:[0,1] op_sel_hi:[1,0]
	v_pk_add_f16 v9, v9, v10 op_sel:[0,1] op_sel_hi:[1,0] neg_lo:[0,1] neg_hi:[0,1]
	v_pk_add_f16 v11, v11, v10 op_sel:[0,1] op_sel_hi:[1,0] neg_lo:[0,1] neg_hi:[0,1]
	;; [unrolled: 1-line block ×3, first 2 shown]
	v_bfi_b32 v7, s0, v7, v9
	v_bfi_b32 v1, s0, v11, v1
	ds_write_b32 v21, v7
	ds_write_b32 v12, v1 offset:960
	ds_read_b32 v1, v20
	ds_read_b32 v7, v12 offset:840
	s_waitcnt lgkmcnt(0)
	v_pk_add_f16 v9, v1, v7 neg_lo:[0,1] neg_hi:[0,1]
	v_pk_add_f16 v1, v1, v7
	v_bfi_b32 v7, s0, v9, v1
	v_bfi_b32 v1, s0, v1, v9
	v_pk_mul_f16 v7, v7, 0.5 op_sel_hi:[1,0]
	v_pk_mul_f16 v1, v1, 0.5 op_sel_hi:[1,0]
	s_waitcnt vmcnt(1)
	v_pk_fma_f16 v9, v8, v7, v1 op_sel:[1,0,0]
	v_pk_mul_f16 v10, v8, v7 op_sel_hi:[0,1]
	v_pk_fma_f16 v11, v8, v7, v1 op_sel:[1,0,0] neg_lo:[1,0,0] neg_hi:[1,0,0]
	v_pk_fma_f16 v1, v8, v7, v1 op_sel:[1,0,0] neg_lo:[0,0,1] neg_hi:[0,0,1]
	v_pk_add_f16 v7, v9, v10 op_sel:[0,1] op_sel_hi:[1,0]
	v_pk_add_f16 v8, v9, v10 op_sel:[0,1] op_sel_hi:[1,0] neg_lo:[0,1] neg_hi:[0,1]
	v_pk_add_f16 v9, v11, v10 op_sel:[0,1] op_sel_hi:[1,0] neg_lo:[0,1] neg_hi:[0,1]
	;; [unrolled: 1-line block ×3, first 2 shown]
	v_bfi_b32 v7, s0, v7, v8
	v_bfi_b32 v1, s0, v9, v1
	ds_write_b32 v20, v7
	ds_write_b32 v12, v1 offset:840
	ds_read_b32 v1, v19 offset:480
	ds_read_b32 v7, v12 offset:720
	s_waitcnt lgkmcnt(0)
	v_pk_add_f16 v8, v1, v7 neg_lo:[0,1] neg_hi:[0,1]
	v_pk_add_f16 v1, v1, v7
	v_bfi_b32 v7, s0, v8, v1
	v_bfi_b32 v1, s0, v1, v8
	v_pk_mul_f16 v7, v7, 0.5 op_sel_hi:[1,0]
	v_pk_mul_f16 v1, v1, 0.5 op_sel_hi:[1,0]
	s_waitcnt vmcnt(0)
	v_pk_fma_f16 v8, v6, v7, v1 op_sel:[1,0,0]
	v_pk_mul_f16 v9, v6, v7 op_sel_hi:[0,1]
	v_pk_fma_f16 v10, v6, v7, v1 op_sel:[1,0,0] neg_lo:[1,0,0] neg_hi:[1,0,0]
	v_pk_fma_f16 v1, v6, v7, v1 op_sel:[1,0,0] neg_lo:[0,0,1] neg_hi:[0,0,1]
	v_pk_add_f16 v6, v8, v9 op_sel:[0,1] op_sel_hi:[1,0]
	v_pk_add_f16 v7, v8, v9 op_sel:[0,1] op_sel_hi:[1,0] neg_lo:[0,1] neg_hi:[0,1]
	v_pk_add_f16 v8, v10, v9 op_sel:[0,1] op_sel_hi:[1,0] neg_lo:[0,1] neg_hi:[0,1]
	;; [unrolled: 1-line block ×3, first 2 shown]
	v_bfi_b32 v6, s0, v6, v7
	v_bfi_b32 v1, s0, v8, v1
	ds_write_b32 v19, v6 offset:480
	ds_write_b32 v12, v1 offset:720
	s_waitcnt lgkmcnt(0)
	; wave barrier
	s_waitcnt lgkmcnt(0)
	s_and_saveexec_b64 s[0:1], vcc
	s_cbranch_execz .LBB0_24
; %bb.22:
	ds_read2_b32 v[6:7], v19 offset1:30
	v_mov_b32_e32 v8, s13
	v_add_co_u32_e32 v1, vcc, s12, v2
	v_addc_co_u32_e32 v2, vcc, v8, v3, vcc
	ds_read2_b32 v[8:9], v19 offset0:60 offset1:90
	v_add_co_u32_e32 v3, vcc, v1, v4
	v_addc_co_u32_e32 v4, vcc, v2, v5, vcc
	s_waitcnt lgkmcnt(1)
	global_store_dword v[3:4], v6, off
	global_store_dword v[3:4], v7, off offset:120
	s_waitcnt lgkmcnt(0)
	global_store_dword v[3:4], v8, off offset:240
	ds_read2_b32 v[5:6], v19 offset0:120 offset1:150
	ds_read2_b32 v[7:8], v19 offset0:180 offset1:210
	global_store_dword v[3:4], v9, off offset:360
	v_add_u32_e32 v9, 0x200, v19
	ds_read2_b32 v[9:10], v9 offset0:112 offset1:142
	v_cmp_eq_u32_e32 vcc, 29, v0
	s_waitcnt lgkmcnt(2)
	global_store_dword v[3:4], v5, off offset:480
	global_store_dword v[3:4], v6, off offset:600
	s_waitcnt lgkmcnt(1)
	global_store_dword v[3:4], v7, off offset:720
	global_store_dword v[3:4], v8, off offset:840
	;; [unrolled: 3-line block ×3, first 2 shown]
	s_and_b64 exec, exec, vcc
	s_cbranch_execz .LBB0_24
; %bb.23:
	ds_read_b32 v0, v19 offset:1084
	s_waitcnt lgkmcnt(0)
	global_store_dword v[1:2], v0, off offset:1200
.LBB0_24:
	s_endpgm
	.section	.rodata,"a",@progbits
	.p2align	6, 0x0
	.amdhsa_kernel fft_rtc_back_len300_factors_10_10_3_wgs_60_tpt_30_halfLds_half_ip_CI_unitstride_sbrr_R2C_dirReg
		.amdhsa_group_segment_fixed_size 0
		.amdhsa_private_segment_fixed_size 0
		.amdhsa_kernarg_size 88
		.amdhsa_user_sgpr_count 6
		.amdhsa_user_sgpr_private_segment_buffer 1
		.amdhsa_user_sgpr_dispatch_ptr 0
		.amdhsa_user_sgpr_queue_ptr 0
		.amdhsa_user_sgpr_kernarg_segment_ptr 1
		.amdhsa_user_sgpr_dispatch_id 0
		.amdhsa_user_sgpr_flat_scratch_init 0
		.amdhsa_user_sgpr_private_segment_size 0
		.amdhsa_uses_dynamic_stack 0
		.amdhsa_system_sgpr_private_segment_wavefront_offset 0
		.amdhsa_system_sgpr_workgroup_id_x 1
		.amdhsa_system_sgpr_workgroup_id_y 0
		.amdhsa_system_sgpr_workgroup_id_z 0
		.amdhsa_system_sgpr_workgroup_info 0
		.amdhsa_system_vgpr_workitem_id 0
		.amdhsa_next_free_vgpr 62
		.amdhsa_next_free_sgpr 22
		.amdhsa_reserve_vcc 1
		.amdhsa_reserve_flat_scratch 0
		.amdhsa_float_round_mode_32 0
		.amdhsa_float_round_mode_16_64 0
		.amdhsa_float_denorm_mode_32 3
		.amdhsa_float_denorm_mode_16_64 3
		.amdhsa_dx10_clamp 1
		.amdhsa_ieee_mode 1
		.amdhsa_fp16_overflow 0
		.amdhsa_exception_fp_ieee_invalid_op 0
		.amdhsa_exception_fp_denorm_src 0
		.amdhsa_exception_fp_ieee_div_zero 0
		.amdhsa_exception_fp_ieee_overflow 0
		.amdhsa_exception_fp_ieee_underflow 0
		.amdhsa_exception_fp_ieee_inexact 0
		.amdhsa_exception_int_div_zero 0
	.end_amdhsa_kernel
	.text
.Lfunc_end0:
	.size	fft_rtc_back_len300_factors_10_10_3_wgs_60_tpt_30_halfLds_half_ip_CI_unitstride_sbrr_R2C_dirReg, .Lfunc_end0-fft_rtc_back_len300_factors_10_10_3_wgs_60_tpt_30_halfLds_half_ip_CI_unitstride_sbrr_R2C_dirReg
                                        ; -- End function
	.section	.AMDGPU.csdata,"",@progbits
; Kernel info:
; codeLenInByte = 6704
; NumSgprs: 26
; NumVgprs: 62
; ScratchSize: 0
; MemoryBound: 0
; FloatMode: 240
; IeeeMode: 1
; LDSByteSize: 0 bytes/workgroup (compile time only)
; SGPRBlocks: 3
; VGPRBlocks: 15
; NumSGPRsForWavesPerEU: 26
; NumVGPRsForWavesPerEU: 62
; Occupancy: 4
; WaveLimiterHint : 1
; COMPUTE_PGM_RSRC2:SCRATCH_EN: 0
; COMPUTE_PGM_RSRC2:USER_SGPR: 6
; COMPUTE_PGM_RSRC2:TRAP_HANDLER: 0
; COMPUTE_PGM_RSRC2:TGID_X_EN: 1
; COMPUTE_PGM_RSRC2:TGID_Y_EN: 0
; COMPUTE_PGM_RSRC2:TGID_Z_EN: 0
; COMPUTE_PGM_RSRC2:TIDIG_COMP_CNT: 0
	.type	__hip_cuid_a2f1113459139536,@object ; @__hip_cuid_a2f1113459139536
	.section	.bss,"aw",@nobits
	.globl	__hip_cuid_a2f1113459139536
__hip_cuid_a2f1113459139536:
	.byte	0                               ; 0x0
	.size	__hip_cuid_a2f1113459139536, 1

	.ident	"AMD clang version 19.0.0git (https://github.com/RadeonOpenCompute/llvm-project roc-6.4.0 25133 c7fe45cf4b819c5991fe208aaa96edf142730f1d)"
	.section	".note.GNU-stack","",@progbits
	.addrsig
	.addrsig_sym __hip_cuid_a2f1113459139536
	.amdgpu_metadata
---
amdhsa.kernels:
  - .args:
      - .actual_access:  read_only
        .address_space:  global
        .offset:         0
        .size:           8
        .value_kind:     global_buffer
      - .offset:         8
        .size:           8
        .value_kind:     by_value
      - .actual_access:  read_only
        .address_space:  global
        .offset:         16
        .size:           8
        .value_kind:     global_buffer
      - .actual_access:  read_only
        .address_space:  global
        .offset:         24
        .size:           8
        .value_kind:     global_buffer
      - .offset:         32
        .size:           8
        .value_kind:     by_value
      - .actual_access:  read_only
        .address_space:  global
        .offset:         40
        .size:           8
        .value_kind:     global_buffer
      - .actual_access:  read_only
        .address_space:  global
        .offset:         48
        .size:           8
        .value_kind:     global_buffer
      - .offset:         56
        .size:           4
        .value_kind:     by_value
      - .actual_access:  read_only
        .address_space:  global
        .offset:         64
        .size:           8
        .value_kind:     global_buffer
      - .actual_access:  read_only
        .address_space:  global
        .offset:         72
        .size:           8
        .value_kind:     global_buffer
      - .address_space:  global
        .offset:         80
        .size:           8
        .value_kind:     global_buffer
    .group_segment_fixed_size: 0
    .kernarg_segment_align: 8
    .kernarg_segment_size: 88
    .language:       OpenCL C
    .language_version:
      - 2
      - 0
    .max_flat_workgroup_size: 60
    .name:           fft_rtc_back_len300_factors_10_10_3_wgs_60_tpt_30_halfLds_half_ip_CI_unitstride_sbrr_R2C_dirReg
    .private_segment_fixed_size: 0
    .sgpr_count:     26
    .sgpr_spill_count: 0
    .symbol:         fft_rtc_back_len300_factors_10_10_3_wgs_60_tpt_30_halfLds_half_ip_CI_unitstride_sbrr_R2C_dirReg.kd
    .uniform_work_group_size: 1
    .uses_dynamic_stack: false
    .vgpr_count:     62
    .vgpr_spill_count: 0
    .wavefront_size: 64
amdhsa.target:   amdgcn-amd-amdhsa--gfx906
amdhsa.version:
  - 1
  - 2
...

	.end_amdgpu_metadata
